;; amdgpu-corpus repo=ROCm/rocFFT kind=compiled arch=gfx1201 opt=O3
	.text
	.amdgcn_target "amdgcn-amd-amdhsa--gfx1201"
	.amdhsa_code_object_version 6
	.protected	fft_rtc_back_len169_factors_13_13_wgs_156_tpt_13_dp_op_CI_CI_sbrc_xy_z_diag_dirReg ; -- Begin function fft_rtc_back_len169_factors_13_13_wgs_156_tpt_13_dp_op_CI_CI_sbrc_xy_z_diag_dirReg
	.globl	fft_rtc_back_len169_factors_13_13_wgs_156_tpt_13_dp_op_CI_CI_sbrc_xy_z_diag_dirReg
	.p2align	8
	.type	fft_rtc_back_len169_factors_13_13_wgs_156_tpt_13_dp_op_CI_CI_sbrc_xy_z_diag_dirReg,@function
fft_rtc_back_len169_factors_13_13_wgs_156_tpt_13_dp_op_CI_CI_sbrc_xy_z_diag_dirReg: ; @fft_rtc_back_len169_factors_13_13_wgs_156_tpt_13_dp_op_CI_CI_sbrc_xy_z_diag_dirReg
; %bb.0:
	s_load_b256 s[4:11], s[0:1], 0x0
	v_add_nc_u16 v5, v0, 0x270
	v_add_nc_u16 v2, v0, 0x9c
	v_mul_u32_u24_e32 v1, 0x184, v0
	v_add_nc_u16 v3, v0, 0x138
	v_mov_b32_e32 v54, 0
	v_and_b32_e32 v8, 0xffff, v5
	v_and_b32_e32 v6, 0xffff, v2
	v_lshrrev_b32_e32 v55, 16, v1
	v_and_b32_e32 v1, 0xffff, v3
	v_add_nc_u16 v4, v0, 0x1d4
	v_mul_u32_u24_e32 v8, 0x184, v8
	v_mul_u32_u24_e32 v6, 0x184, v6
	v_mul_lo_u16 v9, 0xa9, v55
	v_mul_u32_u24_e32 v1, 0x184, v1
	v_and_b32_e32 v7, 0xffff, v4
	v_lshrrev_b32_e32 v60, 16, v8
	v_lshrrev_b32_e32 v56, 16, v6
	s_clause 0x1
	s_load_b128 s[12:15], s[0:1], 0x58
	s_load_b64 s[20:21], s[0:1], 0x20
	s_wait_kmcnt 0x0
	s_load_b128 s[24:27], s[8:9], 0x8
	v_lshrrev_b32_e32 v57, 16, v1
	v_mul_u32_u24_e32 v7, 0x184, v7
	v_sub_nc_u16 v59, v0, v9
	v_mul_lo_u16 v1, 0xa9, v56
	v_mul_lo_u16 v9, 0xa9, v60
	;; [unrolled: 1-line block ×3, first 2 shown]
	v_lshrrev_b32_e32 v58, 16, v7
	v_and_b32_e32 v11, 0xffff, v59
	v_sub_nc_u16 v61, v2, v1
	v_sub_nc_u16 v64, v5, v9
	;; [unrolled: 1-line block ×3, first 2 shown]
	v_mul_lo_u16 v7, 0xa9, v58
	v_add_nc_u16 v19, v0, 0x30c
	v_and_b32_e32 v13, 0xffff, v61
	s_mov_b32 s17, 0
	v_and_b32_e32 v14, 0xffff, v62
	v_sub_nc_u16 v63, v4, v7
	s_mov_b32 s19, s17
	v_add_nc_u16 v22, v0, 0x3a8
	s_wait_kmcnt 0x0
	s_add_co_i32 s0, s26, -1
	v_add_nc_u16 v24, v0, 0x444
	s_mul_hi_u32 s0, s0, 0xaaaaaaab
	v_and_b32_e32 v15, 0xffff, v63
	s_lshr_b32 s8, s0, 3
	s_load_b128 s[0:3], s[10:11], 0x0
	s_wait_kmcnt 0x0
	s_add_co_i32 s3, s8, 1
	s_load_b32 s8, s[10:11], 0x10
	s_mul_i32 s3, s3, s24
	v_add_nc_u16 v30, v0, 0x4e0
	s_cvt_f32_u32 s9, s3
	s_sub_co_i32 s16, 0, s3
	v_add_nc_u16 v38, v0, 0x618
	v_add_nc_u16 v40, v0, 0x6b4
	v_rcp_iflag_f32_e32 v8, s9
	v_and_b32_e32 v31, 0xffff, v30
	v_add_nc_u16 v41, v0, 0x750
	v_mul_lo_u16 v59, v59, 12
	v_mul_lo_u16 v61, v61, 12
	s_mov_b32 s28, 0x4267c47c
	s_mov_b32 s29, 0xbfddbe06
	v_and_b32_e32 v43, 0xffff, v41
	s_mov_b32 s24, 0x42a4c3d2
	s_mov_b32 s25, 0xbfea55e2
	v_readfirstlane_b32 s9, v8
	v_mad_co_u64_u32 v[1:2], null, s0, v11, 0
	v_mad_co_u64_u32 v[3:4], null, s0, v13, 0
	s_delay_alu instid0(VALU_DEP_3) | instskip(SKIP_4) | instid1(VALU_DEP_3)
	s_mul_f32 s9, s9, 0x4f7ffffe
	v_mad_co_u64_u32 v[5:6], null, s0, v14, 0
	v_mad_co_u64_u32 v[7:8], null, s0, v15, 0
	s_wait_alu 0xfffe
	s_cvt_u32_f32 s9, s9
	v_mad_co_u64_u32 v[11:12], null, s1, v11, v[2:3]
	s_wait_kmcnt 0x0
	v_mul_lo_u32 v53, s8, v55
	s_wait_alu 0xfffe
	s_mul_i32 s16, s16, s9
	v_mad_co_u64_u32 v[12:13], null, s1, v13, v[4:5]
	s_mul_hi_u32 s16, s9, s16
	v_and_b32_e32 v17, 0xffff, v19
	s_add_co_i32 s9, s9, s16
	v_mov_b32_e32 v2, v11
	s_wait_alu 0xfffe
	s_mul_hi_u32 s9, ttmp9, s9
	v_mad_co_u64_u32 v[13:14], null, s1, v14, v[6:7]
	v_mov_b32_e32 v4, v12
	s_wait_alu 0xfffe
	s_mul_i32 s16, s9, s3
	s_add_co_i32 s18, s9, 1
	s_sub_co_i32 s16, ttmp9, s16
	v_lshlrev_b64_e32 v[1:2], 4, v[1:2]
	s_sub_co_i32 s22, s16, s3
	s_cmp_ge_u32 s16, s3
	v_lshlrev_b64_e32 v[9:10], 4, v[53:54]
	s_cselect_b32 s9, s18, s9
	s_cselect_b32 s16, s22, s16
	s_wait_alu 0xfffe
	s_add_co_i32 s18, s9, 1
	s_cmp_ge_u32 s16, s3
	v_mul_lo_u32 v53, s8, v56
	s_cselect_b32 s18, s18, s9
	s_lshl_b64 s[6:7], s[6:7], 3
	s_mul_i32 s3, s18, s3
	s_add_nc_u64 s[10:11], s[10:11], s[6:7]
	s_sub_co_i32 s3, ttmp9, s3
	s_load_b64 s[10:11], s[10:11], 0x0
	s_mul_hi_u32 s9, s3, 0x4ec4ec4f
	v_lshlrev_b64_e32 v[3:4], 4, v[3:4]
	s_wait_alu 0xfffe
	s_lshr_b32 s9, s9, 2
	v_mad_co_u64_u32 v[14:15], null, s1, v15, v[8:9]
	s_wait_alu 0xfffe
	s_mul_i32 s16, s9, 13
	v_mov_b32_e32 v6, v13
	s_sub_co_i32 s52, s3, s16
	v_lshlrev_b64_e32 v[15:16], 4, v[53:54]
	s_add_co_i32 s9, s9, s52
	s_mul_i32 s52, s52, 12
	s_wait_alu 0xfffe
	s_mul_hi_u32 s3, s9, 0x60f25deb
	s_mul_i32 s16, s52, s8
	s_lshr_b32 s3, s3, 6
	v_mul_lo_u32 v53, s8, v57
	s_mulk_i32 s3, 0xa9
	v_lshlrev_b64_e32 v[5:6], 4, v[5:6]
	s_sub_co_i32 s33, s9, s3
	v_mov_b32_e32 v8, v14
	s_wait_kmcnt 0x0
	s_mul_u64 s[10:11], s[10:11], s[18:19]
	s_mul_i32 s9, s33, s2
	s_lshl_b64 s[2:3], s[10:11], 4
	s_wait_alu 0xfffe
	s_add_co_i32 s16, s9, s16
	s_add_nc_u64 s[2:3], s[12:13], s[2:3]
	s_lshl_b64 s[10:11], s[16:17], 4
	v_mul_u32_u24_e32 v13, 0xc1f, v17
	s_add_nc_u64 s[2:3], s[2:3], s[10:11]
	v_or_b32_e32 v55, v59, v55
	v_add_co_u32 v1, vcc_lo, s2, v1
	v_add_co_ci_u32_e32 v2, vcc_lo, s3, v2, vcc_lo
	v_add_co_u32 v3, vcc_lo, s2, v3
	s_wait_alu 0xfffd
	v_add_co_ci_u32_e32 v4, vcc_lo, s3, v4, vcc_lo
	v_add_co_u32 v1, vcc_lo, v1, v9
	s_wait_alu 0xfffd
	;; [unrolled: 3-line block ×3, first 2 shown]
	v_add_co_ci_u32_e32 v10, vcc_lo, v4, v16, vcc_lo
	v_lshlrev_b64_e32 v[3:4], 4, v[53:54]
	v_mul_lo_u32 v53, s8, v58
	v_add_co_u32 v11, vcc_lo, s2, v5
	s_wait_alu 0xfffd
	v_add_co_ci_u32_e32 v12, vcc_lo, s3, v6, vcc_lo
	v_lshlrev_b64_e32 v[5:6], 4, v[7:8]
	s_delay_alu instid0(VALU_DEP_3) | instskip(SKIP_1) | instid1(VALU_DEP_3)
	v_add_co_u32 v11, vcc_lo, v11, v3
	s_wait_alu 0xfffd
	v_add_co_ci_u32_e32 v12, vcc_lo, v12, v4, vcc_lo
	v_lshlrev_b64_e32 v[3:4], 4, v[53:54]
	s_delay_alu instid0(VALU_DEP_4) | instskip(SKIP_3) | instid1(VALU_DEP_3)
	v_add_co_u32 v8, vcc_lo, s2, v5
	s_wait_alu 0xfffd
	v_add_co_ci_u32_e32 v6, vcc_lo, s3, v6, vcc_lo
	v_lshrrev_b32_e32 v65, 19, v13
	v_add_co_u32 v13, vcc_lo, v8, v3
	v_and_b32_e32 v3, 0xffff, v22
	v_and_b32_e32 v15, 0xffff, v64
	s_delay_alu instid0(VALU_DEP_4)
	v_mul_lo_u16 v7, 0xa9, v65
	v_mul_lo_u32 v53, s8, v60
	s_wait_alu 0xfffd
	v_add_co_ci_u32_e32 v14, vcc_lo, v6, v4, vcc_lo
	v_mul_u32_u24_e32 v23, 0xc1f, v3
	v_mad_co_u64_u32 v[17:18], null, s0, v15, 0
	v_sub_nc_u16 v66, v19, v7
	v_mad_u16 v58, v63, 12, v58
	s_delay_alu instid0(VALU_DEP_4)
	v_lshrrev_b32_e32 v67, 19, v23
	v_and_b32_e32 v23, 0xffff, v24
	v_or_b32_e32 v56, v61, v56
	v_and_b32_e32 v21, 0xffff, v66
	v_mov_b32_e32 v5, v18
	v_mul_lo_u16 v25, 0xa9, v67
	v_mul_u32_u24_e32 v23, 0xc1f, v23
	v_mad_u16 v57, v62, 12, v57
	v_mad_u16 v60, v64, 12, v60
	v_mad_co_u64_u32 v[18:19], null, s1, v15, v[5:6]
	s_delay_alu instid0(VALU_DEP_4)
	v_lshrrev_b32_e32 v69, 19, v23
	v_mad_co_u64_u32 v[19:20], null, s0, v21, 0
	v_sub_nc_u16 v68, v22, v25
	s_clause 0x3
	global_load_b128 v[1:4], v[1:2], off
	global_load_b128 v[5:8], v[9:10], off
	;; [unrolled: 1-line block ×4, first 2 shown]
	v_mul_lo_u16 v27, 0xa9, v69
	v_lshlrev_b64_e32 v[17:18], 4, v[17:18]
	v_and_b32_e32 v55, 0xffff, v55
	v_and_b32_e32 v23, 0xffff, v68
	v_mad_co_u64_u32 v[20:21], null, s1, v21, v[20:21]
	v_sub_nc_u16 v70, v24, v27
	v_add_co_u32 v21, vcc_lo, s2, v17
	s_delay_alu instid0(VALU_DEP_4)
	v_mad_co_u64_u32 v[25:26], null, s0, v23, 0
	s_wait_alu 0xfffd
	v_add_co_ci_u32_e32 v22, vcc_lo, s3, v18, vcc_lo
	v_lshlrev_b64_e32 v[17:18], 4, v[53:54]
	v_and_b32_e32 v29, 0xffff, v70
	v_mul_lo_u32 v53, s8, v65
	v_lshlrev_b64_e32 v[19:20], 4, v[19:20]
	v_mad_u16 v62, v66, 12, v65
	v_mad_u16 v63, v68, 12, v67
	v_mad_co_u64_u32 v[27:28], null, s0, v29, 0
	v_add_co_u32 v17, vcc_lo, v21, v17
	v_mov_b32_e32 v21, v26
	s_wait_alu 0xfffd
	v_add_co_ci_u32_e32 v18, vcc_lo, v22, v18, vcc_lo
	v_add_co_u32 v24, vcc_lo, s2, v19
	s_wait_alu 0xfffd
	v_add_co_ci_u32_e32 v26, vcc_lo, s3, v20, vcc_lo
	v_lshlrev_b64_e32 v[19:20], 4, v[53:54]
	v_mad_co_u64_u32 v[21:22], null, s1, v23, v[21:22]
	v_mov_b32_e32 v22, v28
	v_mul_u32_u24_e32 v28, 0xc1f, v31
	v_add_nc_u16 v31, v0, 0x57c
	v_add_co_u32 v23, vcc_lo, v24, v19
	s_wait_alu 0xfffd
	v_add_co_ci_u32_e32 v24, vcc_lo, v26, v20, vcc_lo
	v_lshrrev_b32_e32 v71, 19, v28
	s_delay_alu instid0(VALU_DEP_3) | instskip(SKIP_2) | instid1(VALU_DEP_4)
	v_mad_co_u64_u32 v[28:29], null, s1, v29, v[22:23]
	v_mov_b32_e32 v26, v21
	v_mul_lo_u32 v53, s8, v67
	v_mul_lo_u16 v29, 0xa9, v71
	s_clause 0x1
	global_load_b128 v[17:20], v[17:18], off
	global_load_b128 v[21:24], v[23:24], off
	v_mad_u16 v64, v70, 12, v69
	v_lshlrev_b64_e32 v[25:26], 4, v[25:26]
	v_lshlrev_b64_e32 v[27:28], 4, v[27:28]
	v_sub_nc_u16 v72, v30, v29
	v_and_b32_e32 v29, 0xffff, v31
	v_and_b32_e32 v56, 0xffff, v56
	;; [unrolled: 1-line block ×3, first 2 shown]
	v_add_co_u32 v30, vcc_lo, s2, v25
	s_delay_alu instid0(VALU_DEP_4)
	v_mul_u32_u24_e32 v29, 0xc1f, v29
	v_and_b32_e32 v35, 0xffff, v72
	s_wait_alu 0xfffd
	v_add_co_ci_u32_e32 v32, vcc_lo, s3, v26, vcc_lo
	v_lshlrev_b64_e32 v[25:26], 4, v[53:54]
	v_lshrrev_b32_e32 v73, 19, v29
	v_mul_lo_u32 v53, s8, v69
	v_mad_co_u64_u32 v[33:34], null, s0, v35, 0
	v_mad_u16 v65, v72, 12, v71
	v_add_co_u32 v25, vcc_lo, v30, v25
	v_mul_lo_u16 v29, 0xa9, v73
	s_wait_alu 0xfffd
	v_add_co_ci_u32_e32 v26, vcc_lo, v32, v26, vcc_lo
	v_add_co_u32 v30, vcc_lo, s2, v27
	s_wait_alu 0xfffd
	v_add_co_ci_u32_e32 v32, vcc_lo, s3, v28, vcc_lo
	v_sub_nc_u16 v74, v31, v29
	v_lshlrev_b64_e32 v[28:29], 4, v[53:54]
	v_mov_b32_e32 v27, v34
	v_mul_lo_u32 v53, s8, v71
	v_lshl_add_u32 v55, v55, 4, 0
	v_and_b32_e32 v37, 0xffff, v74
	v_mad_u16 v66, v74, 12, v73
	v_mad_co_u64_u32 v[34:35], null, s1, v35, v[27:28]
	v_and_b32_e32 v27, 0xffff, v38
	s_delay_alu instid0(VALU_DEP_4) | instskip(SKIP_1) | instid1(VALU_DEP_3)
	v_mad_co_u64_u32 v[35:36], null, s0, v37, 0
	v_add_co_u32 v30, vcc_lo, v30, v28
	v_mul_u32_u24_e32 v39, 0xc1f, v27
	v_lshlrev_b64_e32 v[33:34], 4, v[33:34]
	s_wait_alu 0xfffd
	v_add_co_ci_u32_e32 v31, vcc_lo, v32, v29, vcc_lo
	v_mad_co_u64_u32 v[36:37], null, s1, v37, v[36:37]
	v_lshrrev_b32_e32 v75, 19, v39
	v_and_b32_e32 v39, 0xffff, v40
	v_mul_u32_u24_e32 v37, 0xc1f, v43
	s_clause 0x1
	global_load_b128 v[25:28], v[25:26], off
	global_load_b128 v[29:32], v[30:31], off
	v_and_b32_e32 v61, 0xffff, v63
	v_mul_lo_u16 v42, 0xa9, v75
	v_mul_u32_u24_e32 v39, 0xc1f, v39
	v_lshrrev_b32_e32 v78, 19, v37
	v_lshlrev_b64_e32 v[35:36], 4, v[35:36]
	v_and_b32_e32 v63, 0xffff, v65
	v_sub_nc_u16 v76, v38, v42
	v_lshrrev_b32_e32 v77, 19, v39
	v_add_co_u32 v39, vcc_lo, s2, v33
	s_wait_alu 0xfffd
	v_add_co_ci_u32_e32 v42, vcc_lo, s3, v34, vcc_lo
	s_delay_alu instid0(VALU_DEP_3)
	v_mul_lo_u16 v44, 0xa9, v77
	v_lshlrev_b64_e32 v[33:34], 4, v[53:54]
	v_and_b32_e32 v43, 0xffff, v76
	v_mul_lo_u32 v53, s8, v73
	v_mad_u16 v67, v76, 12, v75
	v_sub_nc_u16 v79, v40, v44
	v_mul_lo_u16 v40, 0xa9, v78
	v_mad_co_u64_u32 v[37:38], null, s0, v43, 0
	v_add_co_u32 v33, vcc_lo, v39, v33
	s_delay_alu instid0(VALU_DEP_4) | instskip(NEXT) | instid1(VALU_DEP_4)
	v_and_b32_e32 v46, 0xffff, v79
	v_sub_nc_u16 v80, v41, v40
	s_wait_alu 0xfffd
	v_add_co_ci_u32_e32 v34, vcc_lo, v42, v34, vcc_lo
	v_add_co_u32 v47, vcc_lo, s2, v35
	v_mad_co_u64_u32 v[39:40], null, s0, v46, 0
	v_and_b32_e32 v48, 0xffff, v80
	v_lshlrev_b64_e32 v[44:45], 4, v[53:54]
	s_wait_alu 0xfffd
	v_add_co_ci_u32_e32 v49, vcc_lo, s3, v36, vcc_lo
	v_mul_lo_u32 v53, s8, v75
	v_dual_mov_b32 v35, v40 :: v_dual_and_b32 v58, 0xffff, v58
	v_mad_co_u64_u32 v[41:42], null, s1, v43, v[38:39]
	v_mad_co_u64_u32 v[42:43], null, s0, v48, 0
	s_delay_alu instid0(VALU_DEP_3) | instskip(SKIP_1) | instid1(VALU_DEP_4)
	v_mad_co_u64_u32 v[35:36], null, s1, v46, v[35:36]
	v_add_co_u32 v44, vcc_lo, v47, v44
	v_mov_b32_e32 v38, v41
	s_wait_alu 0xfffd
	v_add_co_ci_u32_e32 v45, vcc_lo, v49, v45, vcc_lo
	v_mov_b32_e32 v36, v43
	v_lshlrev_b64_e32 v[46:47], 4, v[53:54]
	v_lshlrev_b64_e32 v[37:38], 4, v[37:38]
	v_mul_lo_u32 v53, s8, v77
	v_mov_b32_e32 v40, v35
	v_mad_u16 v68, v79, 12, v77
	v_mad_u16 v69, v80, 12, v78
	v_and_b32_e32 v65, 0xffff, v67
	v_mad_co_u64_u32 v[48:49], null, s1, v48, v[36:37]
	v_add_co_u32 v37, vcc_lo, s2, v37
	s_wait_alu 0xfffd
	v_add_co_ci_u32_e32 v38, vcc_lo, s3, v38, vcc_lo
	v_lshlrev_b64_e32 v[35:36], 4, v[39:40]
	s_delay_alu instid0(VALU_DEP_3)
	v_add_co_u32 v46, vcc_lo, v37, v46
	v_mov_b32_e32 v43, v48
	s_wait_alu 0xfffd
	v_add_co_ci_u32_e32 v47, vcc_lo, v38, v47, vcc_lo
	v_lshlrev_b64_e32 v[37:38], 4, v[53:54]
	v_mul_lo_u32 v53, s8, v78
	v_lshlrev_b64_e32 v[39:40], 4, v[42:43]
	v_add_co_u32 v41, vcc_lo, s2, v35
	s_wait_alu 0xfffd
	v_add_co_ci_u32_e32 v42, vcc_lo, s3, v36, vcc_lo
	v_and_b32_e32 v67, 0xffff, v69
	s_delay_alu instid0(VALU_DEP_4)
	v_add_co_u32 v39, vcc_lo, s2, v39
	v_lshlrev_b64_e32 v[35:36], 4, v[53:54]
	s_wait_alu 0xfffd
	v_add_co_ci_u32_e32 v40, vcc_lo, s3, v40, vcc_lo
	v_add_co_u32 v48, vcc_lo, v41, v37
	s_wait_alu 0xfffd
	v_add_co_ci_u32_e32 v49, vcc_lo, v42, v38, vcc_lo
	v_add_co_u32 v50, vcc_lo, v39, v35
	s_wait_alu 0xfffd
	v_add_co_ci_u32_e32 v51, vcc_lo, v40, v36, vcc_lo
	s_clause 0x4
	global_load_b128 v[33:36], v[33:34], off
	global_load_b128 v[37:40], v[44:45], off
	;; [unrolled: 1-line block ×5, first 2 shown]
	v_mul_u32_u24_e32 v53, 0x1556, v0
	v_lshl_add_u32 v56, v56, 4, 0
	v_lshl_add_u32 v57, v57, 4, 0
	;; [unrolled: 1-line block ×3, first 2 shown]
	s_add_nc_u64 s[6:7], s[20:21], s[6:7]
	v_lshrrev_b32_e32 v82, 16, v53
	s_clause 0x1
	s_load_b128 s[0:3], s[20:21], 0x0
	s_load_b64 s[50:51], s[6:7], 0x0
	s_wait_kmcnt 0x0
	s_load_b32 s3, s[20:21], 0x10
	v_lshl_add_u32 v61, v61, 4, 0
	v_mul_lo_u16 v53, v82, 12
	v_mul_u32_u24_e32 v59, 0xc0, v82
	v_lshl_add_u32 v63, v63, 4, 0
	v_lshl_add_u32 v65, v65, 4, 0
	;; [unrolled: 1-line block ×3, first 2 shown]
	v_sub_nc_u16 v53, v0, v53
	s_mov_b32 s10, 0x1ea71119
	s_mov_b32 s6, 0xe00740e9
	;; [unrolled: 1-line block ×4, first 2 shown]
	v_and_b32_e32 v53, 0xffff, v53
	s_mov_b32 s22, 0xebaa3ed8
	s_mov_b32 s7, 0x3fec55a7
	;; [unrolled: 1-line block ×4, first 2 shown]
	v_lshlrev_b32_e32 v81, 4, v53
	s_mov_b32 s34, 0x2ef20147
	s_mov_b32 s38, 0xb2365da1
	;; [unrolled: 1-line block ×4, first 2 shown]
	v_add3_u32 v81, 0, v59, v81
	v_and_b32_e32 v59, 0xffff, v60
	v_and_b32_e32 v60, 0xffff, v62
	;; [unrolled: 1-line block ×5, first 2 shown]
	v_lshl_add_u32 v59, v59, 4, 0
	v_lshl_add_u32 v60, v60, 4, 0
	;; [unrolled: 1-line block ×5, first 2 shown]
	s_mov_b32 s36, 0x4bc48dbf
	s_mov_b32 s39, 0xbfd6b1d8
	;; [unrolled: 1-line block ×20, first 2 shown]
	v_mul_u32_u24_e32 v0, 0x1a5, v0
	s_wait_kmcnt 0x0
	s_mul_i32 s16, s33, s3
	s_wait_loadcnt 0xc
	ds_store_b128 v55, v[1:4]
	s_wait_loadcnt 0xb
	ds_store_b128 v56, v[5:8]
	;; [unrolled: 2-line block ×13, first 2 shown]
	global_wb scope:SCOPE_SE
	s_wait_dscnt 0x0
	s_barrier_signal -1
	s_barrier_wait -1
	global_inv scope:SCOPE_SE
	ds_load_b128 v[5:8], v81
	ds_load_b128 v[21:24], v81 offset:2496
	ds_load_b128 v[29:32], v81 offset:4992
	;; [unrolled: 1-line block ×4, first 2 shown]
	v_lshrrev_b32_e32 v0, 16, v0
	s_delay_alu instid0(VALU_DEP_1) | instskip(NEXT) | instid1(VALU_DEP_1)
	v_mul_lo_u16 v0, 0xa9, v0
	v_and_b32_e32 v0, 0xffff, v0
	s_wait_dscnt 0x3
	v_add_f64_e32 v[9:10], v[5:6], v[21:22]
	v_add_f64_e32 v[11:12], v[7:8], v[23:24]
	s_wait_dscnt 0x0
	v_add_f64_e64 v[51:52], v[23:24], -v[3:4]
	v_add_f64_e32 v[55:56], v[23:24], v[3:4]
	v_add_f64_e32 v[105:106], v[21:22], v[1:2]
	v_add_f64_e64 v[107:108], v[21:22], -v[1:2]
	v_add_f64_e32 v[47:48], v[9:10], v[29:30]
	v_add_f64_e32 v[49:50], v[11:12], v[31:32]
	ds_load_b128 v[9:12], v81 offset:27456
	ds_load_b128 v[13:16], v81 offset:24960
	;; [unrolled: 1-line block ×8, first 2 shown]
	v_mul_f64_e32 v[117:118], s[28:29], v[51:52]
	v_mul_f64_e32 v[121:122], s[24:25], v[51:52]
	;; [unrolled: 1-line block ×12, first 2 shown]
	s_wait_dscnt 0x7
	v_add_f64_e64 v[95:96], v[31:32], -v[11:12]
	v_add_f64_e32 v[97:98], v[31:32], v[11:12]
	s_wait_dscnt 0x6
	v_add_f64_e64 v[99:100], v[39:40], -v[15:16]
	v_add_f64_e32 v[109:110], v[29:30], v[9:10]
	v_add_f64_e32 v[101:102], v[39:40], v[15:16]
	s_wait_dscnt 0x2
	v_add_f64_e32 v[45:46], v[83:84], v[25:26]
	v_add_f64_e64 v[31:32], v[83:84], -v[25:26]
	v_add_f64_e64 v[71:72], v[85:86], -v[27:28]
	v_add_f64_e32 v[67:68], v[85:86], v[27:28]
	v_add_f64_e64 v[111:112], v[29:30], -v[9:10]
	v_add_f64_e64 v[103:104], v[43:44], -v[19:20]
	v_add_f64_e32 v[113:114], v[37:38], v[13:14]
	v_add_f64_e32 v[77:78], v[43:44], v[19:20]
	v_add_f64_e64 v[115:116], v[37:38], -v[13:14]
	s_wait_dscnt 0x0
	v_add_f64_e64 v[35:36], v[89:90], -v[93:94]
	v_add_f64_e32 v[33:34], v[89:90], v[93:94]
	v_add_f64_e32 v[23:24], v[87:88], v[91:92]
	v_add_f64_e64 v[21:22], v[87:88], -v[91:92]
	global_wb scope:SCOPE_SE
	s_barrier_signal -1
	s_barrier_wait -1
	global_inv scope:SCOPE_SE
	v_add_f64_e32 v[59:60], v[47:48], v[37:38]
	v_add_f64_e32 v[65:66], v[49:50], v[39:40]
	;; [unrolled: 1-line block ×3, first 2 shown]
	v_fma_f64 v[207:208], v[105:106], s[6:7], v[117:118]
	v_fma_f64 v[117:118], v[105:106], s[6:7], -v[117:118]
	v_fma_f64 v[213:214], v[107:108], s[12:13], v[131:132]
	s_wait_alu 0xfffe
	v_fma_f64 v[209:210], v[107:108], s[8:9], v[119:120]
	v_fma_f64 v[119:120], v[107:108], s[28:29], v[119:120]
	;; [unrolled: 1-line block ×5, first 2 shown]
	v_fma_f64 v[125:126], v[105:106], s[38:39], -v[125:126]
	v_fma_f64 v[215:216], v[105:106], s[42:43], v[127:128]
	v_fma_f64 v[127:128], v[105:106], s[42:43], -v[127:128]
	v_fma_f64 v[219:220], v[105:106], s[44:45], v[129:130]
	v_mul_f64_e32 v[141:142], s[24:25], v[95:96]
	v_mul_f64_e32 v[149:150], s[34:35], v[95:96]
	;; [unrolled: 1-line block ×13, first 2 shown]
	v_fma_f64 v[131:132], v[107:108], s[24:25], v[131:132]
	v_fma_f64 v[133:134], v[107:108], s[20:21], v[133:134]
	;; [unrolled: 1-line block ×3, first 2 shown]
	v_mul_f64_e32 v[153:154], s[36:37], v[99:100]
	v_mul_f64_e32 v[155:156], s[44:45], v[101:102]
	;; [unrolled: 1-line block ×7, first 2 shown]
	v_add_f64_e32 v[157:158], v[59:60], v[41:42]
	v_add_f64_e32 v[159:160], v[65:66], v[43:44]
	v_mul_f64_e32 v[183:184], s[24:25], v[99:100]
	v_mul_f64_e32 v[99:100], s[30:31], v[99:100]
	v_add_f64_e32 v[117:118], v[5:6], v[117:118]
	v_add_f64_e32 v[213:214], v[7:8], v[213:214]
	v_mul_f64_e32 v[185:186], s[10:11], v[101:102]
	v_add_f64_e32 v[119:120], v[7:8], v[119:120]
	v_add_f64_e32 v[217:218], v[7:8], v[217:218]
	;; [unrolled: 1-line block ×9, first 2 shown]
	v_fma_f64 v[231:232], v[109:110], s[38:39], v[149:150]
	v_fma_f64 v[233:234], v[111:112], s[40:41], v[151:152]
	v_fma_f64 v[225:226], v[111:112], s[24:25], v[143:144]
	v_fma_f64 v[239:240], v[109:110], s[44:45], v[161:162]
	v_fma_f64 v[241:242], v[111:112], s[46:47], v[163:164]
	v_fma_f64 v[247:248], v[109:110], s[42:43], v[171:172]
	v_fma_f64 v[249:250], v[111:112], s[30:31], v[173:174]
	v_mul_f64_e32 v[61:62], s[34:35], v[103:104]
	v_mul_f64_e32 v[101:102], s[42:43], v[101:102]
	v_fma_f64 v[227:228], v[113:114], s[22:23], -v[145:146]
	v_add_f64_e32 v[209:210], v[7:8], v[209:210]
	v_add_f64_e64 v[47:48], v[41:42], -v[17:18]
	v_add_f64_e32 v[131:132], v[7:8], v[131:132]
	v_add_f64_e32 v[133:134], v[7:8], v[133:134]
	;; [unrolled: 1-line block ×3, first 2 shown]
	v_mul_f64_e32 v[75:76], s[48:49], v[103:104]
	v_mul_f64_e32 v[69:70], s[42:43], v[77:78]
	v_mul_f64_e32 v[169:170], s[8:9], v[103:104]
	v_fma_f64 v[235:236], v[113:114], s[44:45], v[153:154]
	v_fma_f64 v[237:238], v[115:116], s[46:47], v[155:156]
	v_mul_f64_e32 v[57:58], s[38:39], v[77:78]
	v_mul_f64_e32 v[79:80], s[6:7], v[77:78]
	v_add_f64_e32 v[83:84], v[157:158], v[83:84]
	v_add_f64_e32 v[85:86], v[159:160], v[85:86]
	v_fma_f64 v[157:158], v[105:106], s[10:11], v[121:122]
	v_fma_f64 v[159:160], v[105:106], s[22:23], v[123:124]
	v_fma_f64 v[121:122], v[105:106], s[10:11], -v[121:122]
	v_fma_f64 v[123:124], v[105:106], s[22:23], -v[123:124]
	;; [unrolled: 1-line block ×3, first 2 shown]
	v_fma_f64 v[129:130], v[107:108], s[34:35], v[135:136]
	v_fma_f64 v[135:136], v[107:108], s[48:49], v[137:138]
	;; [unrolled: 1-line block ×4, first 2 shown]
	v_fma_f64 v[139:140], v[109:110], s[10:11], -v[141:142]
	v_fma_f64 v[229:230], v[115:116], s[20:21], v[147:148]
	v_fma_f64 v[243:244], v[113:114], s[38:39], v[165:166]
	;; [unrolled: 1-line block ×3, first 2 shown]
	v_mul_f64_e32 v[189:190], s[20:21], v[103:104]
	v_mul_f64_e32 v[191:192], s[22:23], v[77:78]
	v_add_f64_e32 v[213:214], v[233:234], v[213:214]
	v_add_f64_e32 v[119:120], v[225:226], v[119:120]
	v_fma_f64 v[145:146], v[113:114], s[22:23], v[145:146]
	v_add_f64_e32 v[217:218], v[241:242], v[217:218]
	v_fma_f64 v[153:154], v[113:114], s[44:45], -v[153:154]
	v_fma_f64 v[165:166], v[113:114], s[38:39], -v[165:166]
	v_add_f64_e32 v[211:212], v[247:248], v[211:212]
	v_add_f64_e32 v[221:222], v[249:250], v[221:222]
	v_mul_f64_e32 v[201:202], s[46:47], v[103:104]
	v_mul_f64_e32 v[203:204], s[44:45], v[77:78]
	;; [unrolled: 1-line block ×4, first 2 shown]
	v_fma_f64 v[233:234], v[49:50], s[38:39], -v[61:62]
	v_mul_f64_e32 v[63:64], s[26:27], v[71:72]
	v_mul_f64_e32 v[59:60], s[22:23], v[67:68]
	v_fma_f64 v[249:250], v[49:50], s[42:43], v[75:76]
	v_mul_f64_e32 v[73:74], s[24:25], v[71:72]
	v_mul_f64_e32 v[65:66], s[10:11], v[67:68]
	;; [unrolled: 1-line block ×5, first 2 shown]
	v_add_f64_e32 v[83:84], v[83:84], v[87:88]
	v_add_f64_e32 v[85:86], v[85:86], v[89:90]
	v_add_f64_e32 v[157:158], v[5:6], v[157:158]
	v_add_f64_e32 v[159:160], v[5:6], v[159:160]
	v_fma_f64 v[89:90], v[109:110], s[22:23], v[179:180]
	v_add_f64_e32 v[121:122], v[5:6], v[121:122]
	v_add_f64_e32 v[123:124], v[5:6], v[123:124]
	;; [unrolled: 1-line block ×4, first 2 shown]
	v_fma_f64 v[105:106], v[111:112], s[20:21], v[181:182]
	v_add_f64_e32 v[129:130], v[7:8], v[129:130]
	v_add_f64_e32 v[137:138], v[7:8], v[137:138]
	;; [unrolled: 1-line block ×3, first 2 shown]
	v_fma_f64 v[107:108], v[109:110], s[10:11], v[141:142]
	v_fma_f64 v[141:142], v[109:110], s[38:39], -v[149:150]
	v_fma_f64 v[149:150], v[109:110], s[44:45], -v[161:162]
	;; [unrolled: 1-line block ×4, first 2 shown]
	v_fma_f64 v[179:180], v[109:110], s[6:7], v[95:96]
	v_fma_f64 v[95:96], v[109:110], s[6:7], -v[95:96]
	v_fma_f64 v[109:110], v[111:112], s[12:13], v[143:144]
	v_fma_f64 v[143:144], v[111:112], s[34:35], v[151:152]
	;; [unrolled: 1-line block ×7, first 2 shown]
	v_add_f64_e32 v[117:118], v[139:140], v[117:118]
	v_fma_f64 v[87:88], v[113:114], s[6:7], v[175:176]
	v_fma_f64 v[111:112], v[113:114], s[10:11], v[183:184]
	v_fma_f64 v[175:176], v[113:114], s[6:7], -v[175:176]
	v_fma_f64 v[139:140], v[113:114], s[10:11], -v[183:184]
	v_fma_f64 v[183:184], v[113:114], s[42:43], v[99:100]
	v_fma_f64 v[99:100], v[113:114], s[42:43], -v[99:100]
	v_fma_f64 v[113:114], v[115:116], s[28:29], v[177:178]
	v_add_f64_e32 v[119:120], v[229:230], v[119:120]
	v_mul_f64_e32 v[55:56], s[30:31], v[71:72]
	v_mul_f64_e32 v[39:40], s[42:43], v[67:68]
	v_add_f64_e32 v[83:84], v[83:84], v[91:92]
	v_add_f64_e32 v[85:86], v[85:86], v[93:94]
	;; [unrolled: 1-line block ×4, first 2 shown]
	v_fma_f64 v[91:92], v[115:116], s[12:13], v[185:186]
	v_add_f64_e32 v[89:90], v[89:90], v[215:216]
	v_fma_f64 v[93:94], v[115:116], s[26:27], v[147:148]
	v_fma_f64 v[147:148], v[115:116], s[36:37], v[155:156]
	;; [unrolled: 1-line block ×3, first 2 shown]
	v_add_f64_e32 v[105:106], v[105:106], v[135:136]
	v_fma_f64 v[167:168], v[115:116], s[8:9], v[177:178]
	v_fma_f64 v[177:178], v[115:116], s[24:25], v[185:186]
	;; [unrolled: 1-line block ×4, first 2 shown]
	v_add_f64_e32 v[107:108], v[107:108], v[207:208]
	v_add_f64_e32 v[121:122], v[141:142], v[121:122]
	;; [unrolled: 1-line block ×15, first 2 shown]
	v_fma_f64 v[215:216], v[47:48], s[30:31], v[69:70]
	v_fma_f64 v[207:208], v[49:50], s[6:7], v[169:170]
	v_fma_f64 v[97:98], v[49:50], s[6:7], -v[169:170]
	v_add_f64_e32 v[169:170], v[237:238], v[213:214]
	v_fma_f64 v[239:240], v[47:48], s[34:35], v[57:58]
	v_fma_f64 v[141:142], v[47:48], s[28:29], v[79:80]
	v_add_f64_e32 v[213:214], v[245:246], v[217:218]
	v_fma_f64 v[151:152], v[49:50], s[22:23], v[189:190]
	v_fma_f64 v[161:162], v[47:48], s[26:27], v[191:192]
	v_add_f64_e32 v[25:26], v[83:84], v[25:26]
	v_add_f64_e32 v[27:28], v[85:86], v[27:28]
	;; [unrolled: 1-line block ×6, first 2 shown]
	v_mul_f64_e32 v[115:116], s[6:7], v[67:68]
	v_fma_f64 v[173:174], v[49:50], s[44:45], v[201:202]
	v_fma_f64 v[219:220], v[47:48], s[36:37], v[203:204]
	v_add_f64_e32 v[89:90], v[111:112], v[89:90]
	v_add_f64_e32 v[91:92], v[91:92], v[105:106]
	v_mul_f64_e32 v[71:72], s[34:35], v[71:72]
	v_mul_f64_e32 v[67:68], s[38:39], v[67:68]
	v_fma_f64 v[61:62], v[49:50], s[38:39], v[61:62]
	v_fma_f64 v[75:76], v[49:50], s[42:43], -v[75:76]
	v_fma_f64 v[83:84], v[49:50], s[22:23], -v[189:190]
	;; [unrolled: 1-line block ×3, first 2 shown]
	v_fma_f64 v[111:112], v[49:50], s[10:11], v[103:104]
	v_fma_f64 v[69:70], v[47:48], s[48:49], v[69:70]
	;; [unrolled: 1-line block ×3, first 2 shown]
	v_add_f64_e32 v[107:108], v[145:146], v[107:108]
	v_add_f64_e32 v[121:122], v[153:154], v[121:122]
	;; [unrolled: 1-line block ×8, first 2 shown]
	v_fma_f64 v[117:118], v[47:48], s[20:21], v[191:192]
	v_add_f64_e32 v[127:128], v[139:140], v[127:128]
	v_fma_f64 v[139:140], v[47:48], s[46:47], v[203:204]
	v_fma_f64 v[49:50], v[49:50], s[10:11], -v[103:104]
	v_add_f64_e32 v[103:104], v[183:184], v[179:180]
	v_fma_f64 v[145:146], v[47:48], s[24:25], v[77:78]
	v_add_f64_e32 v[147:148], v[185:186], v[181:182]
	v_fma_f64 v[57:58], v[47:48], s[40:41], v[57:58]
	v_add_f64_e32 v[5:6], v[99:100], v[5:6]
	v_fma_f64 v[47:48], v[47:48], s[12:13], v[77:78]
	v_add_f64_e32 v[7:8], v[101:102], v[7:8]
	v_add_f64_e32 v[137:138], v[177:178], v[137:138]
	;; [unrolled: 1-line block ×5, first 2 shown]
	v_mul_f64_e32 v[43:44], s[8:9], v[35:36]
	v_mul_f64_e32 v[41:42], s[6:7], v[33:34]
	v_fma_f64 v[135:136], v[45:46], s[22:23], v[63:64]
	v_fma_f64 v[227:228], v[31:32], s[20:21], v[59:60]
	v_add_f64_e32 v[99:100], v[249:250], v[157:158]
	v_add_f64_e32 v[101:102], v[215:216], v[169:170]
	v_mul_f64_e32 v[51:52], s[30:31], v[35:36]
	v_mul_f64_e32 v[187:188], s[42:43], v[33:34]
	v_fma_f64 v[143:144], v[45:46], s[10:11], v[73:74]
	v_fma_f64 v[149:150], v[31:32], s[12:13], v[65:66]
	v_add_f64_e32 v[77:78], v[239:240], v[119:120]
	v_add_f64_e32 v[119:120], v[207:208], v[159:160]
	;; [unrolled: 1-line block ×3, first 2 shown]
	v_mul_f64_e32 v[197:198], s[12:13], v[35:36]
	v_mul_f64_e32 v[199:200], s[10:11], v[33:34]
	v_fma_f64 v[163:164], v[45:46], s[44:45], v[193:194]
	v_fma_f64 v[171:172], v[31:32], s[36:37], v[195:196]
	v_add_f64_e32 v[87:88], v[151:152], v[87:88]
	v_add_f64_e32 v[113:114], v[161:162], v[113:114]
	v_mul_f64_e32 v[225:226], s[34:35], v[35:36]
	v_mul_f64_e32 v[231:232], s[38:39], v[33:34]
	v_fma_f64 v[223:224], v[45:46], s[6:7], v[205:206]
	v_fma_f64 v[95:96], v[31:32], s[28:29], v[115:116]
	v_add_f64_e32 v[89:90], v[173:174], v[89:90]
	v_add_f64_e32 v[91:92], v[219:220], v[91:92]
	v_mul_f64_e32 v[37:38], s[36:37], v[35:36]
	v_mul_f64_e32 v[29:30], s[44:45], v[33:34]
	v_fma_f64 v[241:242], v[45:46], s[42:43], -v[55:56]
	v_fma_f64 v[247:248], v[31:32], s[30:31], v[39:40]
	v_fma_f64 v[55:56], v[45:46], s[42:43], v[55:56]
	v_fma_f64 v[63:64], v[45:46], s[22:23], -v[63:64]
	v_fma_f64 v[73:74], v[45:46], s[10:11], -v[73:74]
	;; [unrolled: 1-line block ×4, first 2 shown]
	v_fma_f64 v[109:110], v[45:46], s[38:39], v[71:72]
	v_fma_f64 v[45:46], v[45:46], s[38:39], -v[71:72]
	v_add_f64_e32 v[61:62], v[61:62], v[107:108]
	v_add_f64_e32 v[71:72], v[75:76], v[121:122]
	;; [unrolled: 1-line block ×7, first 2 shown]
	v_fma_f64 v[65:66], v[31:32], s[24:25], v[65:66]
	v_add_f64_e32 v[103:104], v[111:112], v[103:104]
	v_add_f64_e32 v[117:118], v[145:146], v[147:148]
	v_add_f64_e32 v[5:6], v[49:50], v[5:6]
	v_fma_f64 v[49:50], v[31:32], s[40:41], v[67:68]
	v_add_f64_e32 v[7:8], v[47:48], v[7:8]
	v_fma_f64 v[47:48], v[31:32], s[34:35], v[67:68]
	v_mul_f64_e32 v[35:36], s[26:27], v[35:36]
	v_mul_f64_e32 v[33:34], s[22:23], v[33:34]
	v_add_f64_e32 v[69:70], v[69:70], v[131:132]
	v_fma_f64 v[59:60], v[31:32], s[26:27], v[59:60]
	v_fma_f64 v[111:112], v[31:32], s[46:47], v[195:196]
	v_add_f64_e32 v[107:108], v[139:140], v[137:138]
	v_fma_f64 v[115:116], v[31:32], s[8:9], v[115:116]
	v_fma_f64 v[31:32], v[31:32], s[48:49], v[39:40]
	v_add_f64_e32 v[25:26], v[57:58], v[25:26]
	v_add_f64_e32 v[13:14], v[17:18], v[13:14]
	;; [unrolled: 1-line block ×5, first 2 shown]
	v_fma_f64 v[123:124], v[23:24], s[6:7], v[43:44]
	v_fma_f64 v[125:126], v[21:22], s[28:29], v[41:42]
	v_add_f64_e32 v[119:120], v[143:144], v[119:120]
	v_add_f64_e32 v[127:128], v[149:150], v[141:142]
	v_fma_f64 v[129:130], v[23:24], s[42:43], v[51:52]
	v_fma_f64 v[131:132], v[21:22], s[48:49], v[187:188]
	v_add_f64_e32 v[17:18], v[163:164], v[87:88]
	v_add_f64_e32 v[19:20], v[171:172], v[113:114]
	v_fma_f64 v[39:40], v[23:24], s[10:11], v[197:198]
	v_fma_f64 v[57:58], v[21:22], s[24:25], v[199:200]
	v_add_f64_e32 v[87:88], v[223:224], v[89:90]
	v_add_f64_e32 v[89:90], v[95:96], v[91:92]
	v_fma_f64 v[91:92], v[23:24], s[38:39], v[225:226]
	v_fma_f64 v[95:96], v[21:22], s[40:41], v[231:232]
	v_add_f64_e32 v[67:68], v[247:248], v[77:78]
	v_fma_f64 v[77:78], v[23:24], s[44:45], -v[37:38]
	v_add_f64_e32 v[55:56], v[55:56], v[61:62]
	v_add_f64_e32 v[61:62], v[63:64], v[71:72]
	;; [unrolled: 1-line block ×10, first 2 shown]
	v_fma_f64 v[37:38], v[23:24], s[44:45], v[37:38]
	v_fma_f64 v[45:46], v[23:24], s[42:43], -v[51:52]
	v_fma_f64 v[47:48], v[23:24], s[10:11], -v[197:198]
	v_fma_f64 v[85:86], v[23:24], s[22:23], v[35:36]
	v_fma_f64 v[93:94], v[21:22], s[20:21], v[33:34]
	v_add_f64_e32 v[59:60], v[59:60], v[69:70]
	v_add_f64_e32 v[69:70], v[111:112], v[97:98]
	v_fma_f64 v[35:36], v[23:24], s[22:23], -v[35:36]
	v_fma_f64 v[97:98], v[21:22], s[26:27], v[33:34]
	v_add_f64_e32 v[73:74], v[115:116], v[107:108]
	v_fma_f64 v[43:44], v[23:24], s[6:7], -v[43:44]
	v_fma_f64 v[51:52], v[23:24], s[38:39], -v[225:226]
	v_fma_f64 v[103:104], v[21:22], s[34:35], v[231:232]
	v_fma_f64 v[107:108], v[21:22], s[12:13], v[199:200]
	;; [unrolled: 1-line block ×4, first 2 shown]
	v_add_f64_e32 v[105:106], v[241:242], v[105:106]
	v_fma_f64 v[121:122], v[21:22], s[36:37], v[29:30]
	v_fma_f64 v[113:114], v[21:22], s[46:47], v[29:30]
	v_add_f64_e32 v[115:116], v[31:32], v[25:26]
	v_add_f64_e32 v[117:118], v[13:14], v[9:10]
	;; [unrolled: 1-line block ×9, first 2 shown]
	v_mul_lo_u16 v5, v82, 20
	v_add_f64_e32 v[21:22], v[91:92], v[87:88]
	v_add_f64_e32 v[23:24], v[95:96], v[89:90]
	s_delay_alu instid0(VALU_DEP_3)
	v_lshrrev_b16 v135, 8, v5
	v_add_f64_e32 v[25:26], v[37:38], v[55:56]
	v_add_f64_e32 v[33:34], v[45:46], v[63:64]
	;; [unrolled: 1-line block ×5, first 2 shown]
	v_mul_lo_u16 v49, v135, 13
	v_add_f64_e32 v[55:56], v[35:36], v[79:80]
	v_add_f64_e32 v[57:58], v[97:98], v[83:84]
	;; [unrolled: 1-line block ×10, first 2 shown]
	v_sub_nc_u16 v49, v82, v49
	v_add_f64_e32 v[27:28], v[113:114], v[115:116]
	v_add_f64_e32 v[1:2], v[117:118], v[1:2]
	;; [unrolled: 1-line block ×3, first 2 shown]
	v_mad_u32_u24 v51, 0x900, v82, v81
	v_and_b32_e32 v49, 0xff, v49
	ds_store_b128 v51, v[9:12] offset:384
	ds_store_b128 v51, v[13:16] offset:576
	;; [unrolled: 1-line block ×12, first 2 shown]
	ds_store_b128 v51, v[1:4]
	v_mul_u32_u24_e32 v50, 12, v49
	global_wb scope:SCOPE_SE
	s_wait_dscnt 0x0
	s_barrier_signal -1
	s_barrier_wait -1
	global_inv scope:SCOPE_SE
	v_lshlrev_b32_e32 v50, 4, v50
	s_clause 0xb
	global_load_b128 v[17:20], v50, s[4:5]
	global_load_b128 v[25:28], v50, s[4:5] offset:176
	global_load_b128 v[21:24], v50, s[4:5] offset:16
	;; [unrolled: 1-line block ×11, first 2 shown]
	ds_load_b128 v[56:59], v81 offset:2496
	ds_load_b128 v[60:63], v81 offset:29952
	v_add_co_u32 v50, s4, s52, v53
	s_delay_alu instid0(VALU_DEP_1) | instskip(SKIP_1) | instid1(VALU_DEP_3)
	v_add_co_ci_u32_e64 v52, null, 0, 0, s4
	v_add_nc_u32_e32 v0, v49, v0
	v_mul_lo_u32 v53, v50, s1
	v_mad_co_u64_u32 v[50:51], null, v50, s0, 0
	s_delay_alu instid0(VALU_DEP_4)
	v_mul_lo_u32 v52, v52, s0
	s_mul_u64 s[0:1], s[50:51], s[18:19]
	s_wait_alu 0xfffe
	s_lshl_b64 s[4:5], s[0:1], 4
	s_lshl_b64 s[0:1], s[16:17], 4
	s_wait_alu 0xfffe
	s_add_nc_u64 s[4:5], s[14:15], s[4:5]
	s_wait_alu 0xfffe
	s_add_nc_u64 s[0:1], s[4:5], s[0:1]
	v_add3_u32 v51, v51, v53, v52
	v_mul_lo_u32 v53, v0, s2
	s_mul_i32 s2, s2, 13
	s_delay_alu instid0(VALU_DEP_2)
	v_lshlrev_b64_e32 v[90:91], 4, v[50:51]
	ds_load_b128 v[64:67], v81 offset:4992
	ds_load_b128 v[68:71], v81 offset:7488
	;; [unrolled: 1-line block ×6, first 2 shown]
	ds_load_b128 v[49:52], v81
	s_wait_alu 0xfffe
	v_add_co_u32 v0, vcc_lo, s0, v90
	s_wait_alu 0xfffd
	v_add_co_ci_u32_e32 v55, vcc_lo, s1, v91, vcc_lo
	ds_load_b128 v[90:93], v81 offset:12480
	ds_load_b128 v[94:97], v81 offset:14976
	;; [unrolled: 1-line block ×4, first 2 shown]
	s_wait_loadcnt_dscnt 0xb0c
	v_mul_f64_e32 v[106:107], v[58:59], v[19:20]
	v_mul_f64_e32 v[108:109], v[56:57], v[19:20]
	s_wait_loadcnt_dscnt 0x90a
	v_mul_f64_e32 v[80:81], v[64:65], v[23:24]
	s_wait_loadcnt_dscnt 0x807
	v_mul_f64_e32 v[112:113], v[76:77], v[35:36]
	v_mul_f64_e32 v[124:125], v[62:63], v[27:28]
	s_wait_loadcnt_dscnt 0x606
	v_mul_f64_e32 v[116:117], v[82:83], v[43:44]
	;; [unrolled: 3-line block ×3, first 2 shown]
	v_mul_f64_e32 v[128:129], v[78:79], v[35:36]
	v_mul_f64_e32 v[130:131], v[70:71], v[31:32]
	;; [unrolled: 1-line block ×8, first 2 shown]
	s_wait_loadcnt_dscnt 0x202
	v_mul_f64_e32 v[136:137], v[94:95], v[11:12]
	s_wait_loadcnt_dscnt 0x101
	v_mul_f64_e32 v[138:139], v[98:99], v[7:8]
	v_lshlrev_b64_e32 v[19:20], 4, v[53:54]
	v_add_nc_u32_e32 v53, s2, v53
	s_wait_loadcnt_dscnt 0x0
	v_mul_f64_e32 v[140:141], v[102:103], v[3:4]
	v_mul_f64_e32 v[134:135], v[90:91], v[15:16]
	s_delay_alu instid0(VALU_DEP_3) | instskip(SKIP_4) | instid1(VALU_DEP_3)
	v_lshlrev_b64_e32 v[122:123], 4, v[53:54]
	v_add_nc_u32_e32 v53, s2, v53
	v_add_co_u32 v19, vcc_lo, v0, v19
	s_wait_alu 0xfffd
	v_add_co_ci_u32_e32 v20, vcc_lo, v55, v20, vcc_lo
	v_lshlrev_b64_e32 v[23:24], 4, v[53:54]
	v_add_nc_u32_e32 v53, s2, v53
	v_fma_f64 v[56:57], v[56:57], v[17:18], v[106:107]
	v_fma_f64 v[58:59], v[58:59], v[17:18], -v[108:109]
	v_fma_f64 v[66:67], v[66:67], v[21:22], -v[80:81]
	;; [unrolled: 1-line block ×3, first 2 shown]
	v_add_co_u32 v17, vcc_lo, v0, v122
	v_fma_f64 v[35:36], v[84:85], v[41:42], -v[116:117]
	v_fma_f64 v[39:40], v[88:89], v[45:46], -v[120:121]
	v_mul_f64_e32 v[84:85], v[96:97], v[11:12]
	v_mul_f64_e32 v[88:89], v[100:101], v[7:8]
	v_fma_f64 v[7:8], v[60:61], v[25:26], v[124:125]
	v_fma_f64 v[60:61], v[64:65], v[21:22], v[126:127]
	;; [unrolled: 1-line block ×4, first 2 shown]
	v_fma_f64 v[27:28], v[62:63], v[25:26], -v[110:111]
	v_lshlrev_b64_e32 v[62:63], 4, v[53:54]
	v_add_nc_u32_e32 v53, s2, v53
	s_wait_alu 0xfffd
	v_add_co_ci_u32_e32 v18, vcc_lo, v55, v123, vcc_lo
	v_add_co_u32 v23, vcc_lo, v0, v23
	s_delay_alu instid0(VALU_DEP_3)
	v_lshlrev_b64_e32 v[78:79], 4, v[53:54]
	s_wait_alu 0xfffd
	v_add_co_ci_u32_e32 v24, vcc_lo, v55, v24, vcc_lo
	v_mul_f64_e32 v[106:107], v[104:105], v[3:4]
	v_add_co_u32 v3, vcc_lo, v0, v62
	s_wait_alu 0xfffd
	v_add_co_ci_u32_e32 v4, vcc_lo, v55, v63, vcc_lo
	v_add_co_u32 v25, vcc_lo, v0, v78
	v_fma_f64 v[70:71], v[70:71], v[29:30], -v[114:115]
	v_mul_f64_e32 v[80:81], v[92:93], v[15:16]
	v_fma_f64 v[15:16], v[82:83], v[41:42], v[43:44]
	v_fma_f64 v[21:22], v[86:87], v[45:46], v[47:48]
	v_fma_f64 v[43:44], v[96:97], v[9:10], -v[136:137]
	v_fma_f64 v[45:46], v[100:101], v[5:6], -v[138:139]
	s_wait_alu 0xfffd
	v_add_co_ci_u32_e32 v26, vcc_lo, v55, v79, vcc_lo
	v_add_f64_e32 v[64:65], v[49:50], v[56:57]
	v_add_f64_e32 v[68:69], v[51:52], v[58:59]
	v_add_f64_e64 v[76:77], v[66:67], -v[31:32]
	v_add_f64_e32 v[78:79], v[66:67], v[31:32]
	v_fma_f64 v[74:75], v[74:75], v[37:38], -v[118:119]
	v_fma_f64 v[37:38], v[72:73], v[37:38], v[132:133]
	v_fma_f64 v[41:42], v[92:93], v[13:14], -v[134:135]
	v_fma_f64 v[9:10], v[94:95], v[9:10], v[84:85]
	v_fma_f64 v[5:6], v[98:99], v[5:6], v[88:89]
	v_fma_f64 v[47:48], v[104:105], v[1:2], -v[140:141]
	v_add_nc_u32_e32 v53, s2, v53
	v_add_f64_e32 v[84:85], v[60:61], v[11:12]
	v_add_f64_e64 v[88:89], v[60:61], -v[11:12]
	v_add_f64_e64 v[62:63], v[58:59], -v[27:28]
	v_add_f64_e32 v[58:59], v[58:59], v[27:28]
	v_lshlrev_b64_e32 v[29:30], 4, v[53:54]
	v_add_nc_u32_e32 v53, s2, v53
	s_delay_alu instid0(VALU_DEP_1)
	v_lshlrev_b64_e32 v[72:73], 4, v[53:54]
	v_add_nc_u32_e32 v53, s2, v53
	v_fma_f64 v[1:2], v[102:103], v[1:2], v[106:107]
	v_add_co_u32 v29, vcc_lo, v0, v29
	s_wait_alu 0xfffd
	v_add_co_ci_u32_e32 v30, vcc_lo, v55, v30, vcc_lo
	v_add_f64_e64 v[82:83], v[70:71], -v[35:36]
	v_fma_f64 v[13:14], v[90:91], v[13:14], v[80:81]
	v_add_f64_e32 v[90:91], v[33:34], v[15:16]
	v_add_f64_e64 v[94:95], v[33:34], -v[15:16]
	v_add_f64_e32 v[86:87], v[70:71], v[35:36]
	v_add_f64_e32 v[80:81], v[56:57], v[7:8]
	v_add_f64_e64 v[56:57], v[56:57], -v[7:8]
	v_add_f64_e32 v[104:105], v[43:44], v[45:46]
	v_add_f64_e32 v[60:61], v[64:65], v[60:61]
	;; [unrolled: 1-line block ×3, first 2 shown]
	v_mul_f64_e32 v[126:127], s[24:25], v[76:77]
	v_mul_f64_e32 v[128:129], s[10:11], v[78:79]
	v_add_f64_e64 v[92:93], v[74:75], -v[39:40]
	v_add_f64_e32 v[98:99], v[74:75], v[39:40]
	v_add_f64_e32 v[96:97], v[37:38], v[21:22]
	v_add_f64_e64 v[100:101], v[37:38], -v[21:22]
	v_mul_f64_e32 v[136:137], s[34:35], v[76:77]
	v_add_f64_e64 v[64:65], v[41:42], -v[47:48]
	v_add_f64_e32 v[68:69], v[41:42], v[47:48]
	v_mul_f64_e32 v[138:139], s[38:39], v[78:79]
	v_mul_f64_e32 v[146:147], s[36:37], v[76:77]
	;; [unrolled: 1-line block ×17, first 2 shown]
	v_add_f64_e64 v[102:103], v[43:44], -v[45:46]
	v_mul_f64_e32 v[130:131], s[20:21], v[82:83]
	v_mul_f64_e32 v[140:141], s[36:37], v[82:83]
	;; [unrolled: 1-line block ×8, first 2 shown]
	v_add_f64_e32 v[33:34], v[60:61], v[33:34]
	v_add_f64_e32 v[66:67], v[66:67], v[70:71]
	v_mul_f64_e32 v[60:61], s[26:27], v[76:77]
	v_mul_f64_e32 v[70:71], s[22:23], v[78:79]
	;; [unrolled: 1-line block ×15, first 2 shown]
	v_fma_f64 v[182:183], v[80:81], s[6:7], v[106:107]
	v_fma_f64 v[106:107], v[80:81], s[6:7], -v[106:107]
	v_fma_f64 v[184:185], v[80:81], s[10:11], v[108:109]
	v_fma_f64 v[108:109], v[80:81], s[10:11], -v[108:109]
	;; [unrolled: 2-line block ×4, first 2 shown]
	v_fma_f64 v[190:191], v[80:81], s[42:43], v[114:115]
	v_fma_f64 v[192:193], v[56:57], s[8:9], v[116:117]
	v_fma_f64 v[114:115], v[80:81], s[42:43], -v[114:115]
	v_fma_f64 v[116:117], v[56:57], s[28:29], v[116:117]
	v_fma_f64 v[194:195], v[80:81], s[44:45], v[62:63]
	;; [unrolled: 1-line block ×3, first 2 shown]
	v_fma_f64 v[62:63], v[80:81], s[44:45], -v[62:63]
	v_fma_f64 v[80:81], v[56:57], s[24:25], v[118:119]
	v_fma_f64 v[118:119], v[56:57], s[26:27], v[120:121]
	;; [unrolled: 1-line block ×6, first 2 shown]
	v_add_f64_e32 v[33:34], v[33:34], v[37:38]
	v_add_f64_e32 v[66:67], v[66:67], v[74:75]
	v_fma_f64 v[37:38], v[56:57], s[48:49], v[124:125]
	v_fma_f64 v[74:75], v[56:57], s[30:31], v[124:125]
	;; [unrolled: 1-line block ×28, first 2 shown]
	v_fma_f64 v[60:61], v[84:85], s[22:23], -v[60:61]
	v_fma_f64 v[70:71], v[88:89], s[26:27], v[70:71]
	v_fma_f64 v[166:167], v[90:91], s[10:11], -v[166:167]
	v_fma_f64 v[168:169], v[94:95], s[24:25], v[168:169]
	;; [unrolled: 2-line block ×3, first 2 shown]
	v_fma_f64 v[126:127], v[84:85], s[10:11], -v[126:127]
	v_fma_f64 v[136:137], v[84:85], s[38:39], -v[136:137]
	v_add_f64_e32 v[33:34], v[33:34], v[13:14]
	v_add_f64_e32 v[41:42], v[66:67], v[41:42]
	v_fma_f64 v[66:67], v[84:85], s[44:45], -v[146:147]
	v_fma_f64 v[146:147], v[84:85], s[42:43], -v[156:157]
	v_fma_f64 v[76:77], v[84:85], s[6:7], -v[76:77]
	v_fma_f64 v[84:85], v[88:89], s[28:29], v[78:79]
	v_fma_f64 v[78:79], v[88:89], s[8:9], v[78:79]
	;; [unrolled: 1-line block ×7, first 2 shown]
	v_fma_f64 v[130:131], v[90:91], s[22:23], -v[130:131]
	v_fma_f64 v[140:141], v[90:91], s[44:45], -v[140:141]
	;; [unrolled: 1-line block ×5, first 2 shown]
	v_fma_f64 v[90:91], v[94:95], s[48:49], v[86:87]
	v_fma_f64 v[86:87], v[94:95], s[30:31], v[86:87]
	;; [unrolled: 1-line block ×7, first 2 shown]
	v_fma_f64 v[134:135], v[96:97], s[38:39], -v[134:135]
	v_fma_f64 v[144:145], v[96:97], s[42:43], -v[144:145]
	;; [unrolled: 1-line block ×5, first 2 shown]
	v_fma_f64 v[96:97], v[100:101], s[36:37], v[172:173]
	v_fma_f64 v[164:165], v[100:101], s[46:47], v[172:173]
	v_add_f64_e32 v[172:173], v[49:50], v[182:183]
	v_add_f64_e32 v[192:193], v[51:52], v[192:193]
	;; [unrolled: 1-line block ×26, first 2 shown]
	v_mul_f64_e32 v[176:177], s[38:39], v[98:99]
	v_mul_f64_e32 v[178:179], s[42:43], v[98:99]
	;; [unrolled: 1-line block ×5, first 2 shown]
	v_add_f64_e32 v[58:59], v[58:59], v[172:173]
	v_add_f64_e32 v[172:173], v[9:10], v[5:6]
	v_add_f64_e64 v[9:10], v[9:10], -v[5:6]
	v_add_f64_e32 v[192:193], v[200:201], v[192:193]
	v_add_f64_e32 v[200:201], v[13:14], v[1:2]
	v_add_f64_e64 v[13:14], v[13:14], -v[1:2]
	v_add_f64_e32 v[60:61], v[60:61], v[114:115]
	v_add_f64_e32 v[5:6], v[33:34], v[5:6]
	;; [unrolled: 1-line block ×24, first 2 shown]
	v_mul_f64_e32 v[126:127], s[8:9], v[64:65]
	v_mul_f64_e32 v[128:129], s[6:7], v[68:69]
	v_fma_f64 v[250:251], v[100:101], s[40:41], v[176:177]
	v_mul_f64_e32 v[33:34], s[30:31], v[64:65]
	v_mul_f64_e32 v[208:209], s[42:43], v[68:69]
	v_fma_f64 v[43:44], v[100:101], s[30:31], v[178:179]
	v_mul_f64_e32 v[45:46], s[26:27], v[64:65]
	v_mul_f64_e32 v[220:221], s[22:23], v[68:69]
	v_add_f64_e32 v[58:59], v[202:203], v[58:59]
	v_fma_f64 v[56:57], v[100:101], s[28:29], v[180:181]
	v_mul_f64_e32 v[238:239], s[24:25], v[64:65]
	v_add_f64_e32 v[192:193], v[204:205], v[192:193]
	v_mul_f64_e32 v[240:241], s[10:11], v[68:69]
	v_fma_f64 v[62:63], v[100:101], s[8:9], v[180:181]
	v_add_f64_e32 v[60:61], v[166:167], v[60:61]
	v_add_f64_e32 v[1:2], v[5:6], v[1:2]
	;; [unrolled: 1-line block ×8, first 2 shown]
	v_fma_f64 v[180:181], v[100:101], s[26:27], v[98:99]
	v_mul_f64_e32 v[248:249], s[46:47], v[64:65]
	v_mul_f64_e32 v[124:125], s[44:45], v[68:69]
	v_add_f64_e32 v[188:189], v[232:233], v[188:189]
	v_add_f64_e32 v[198:199], v[234:235], v[198:199]
	;; [unrolled: 1-line block ×4, first 2 shown]
	v_fma_f64 v[182:183], v[100:101], s[24:25], v[174:175]
	v_mul_f64_e32 v[64:65], s[34:35], v[64:65]
	v_mul_f64_e32 v[68:69], s[38:39], v[68:69]
	v_add_f64_e32 v[156:157], v[156:157], v[194:195]
	v_add_f64_e32 v[84:85], v[90:91], v[84:85]
	v_fma_f64 v[174:175], v[100:101], s[12:13], v[174:175]
	v_add_f64_e32 v[49:50], v[82:83], v[49:50]
	v_add_f64_e32 v[51:52], v[86:87], v[51:52]
	v_fma_f64 v[98:99], v[100:101], s[20:21], v[98:99]
	v_add_f64_e32 v[82:83], v[130:131], v[106:107]
	v_add_f64_e32 v[86:87], v[140:141], v[108:109]
	;; [unrolled: 1-line block ×6, first 2 shown]
	v_fma_f64 v[178:179], v[100:101], s[48:49], v[178:179]
	v_add_f64_e32 v[80:81], v[142:143], v[80:81]
	v_fma_f64 v[176:177], v[100:101], s[34:35], v[176:177]
	v_add_f64_e32 v[106:107], v[132:133], v[116:117]
	v_mul_f64_e32 v[5:6], s[38:39], v[104:105]
	v_fma_f64 v[166:167], v[200:201], s[6:7], v[126:127]
	v_fma_f64 v[168:169], v[13:14], s[28:29], v[128:129]
	v_fma_f64 v[126:127], v[200:201], s[6:7], -v[126:127]
	v_fma_f64 v[128:129], v[13:14], s[8:9], v[128:129]
	v_add_f64_e32 v[1:2], v[1:2], v[21:22]
	v_add_f64_e32 v[39:40], v[41:42], v[39:40]
	;; [unrolled: 1-line block ×4, first 2 shown]
	v_mul_f64_e32 v[210:211], s[36:37], v[102:103]
	v_mul_f64_e32 v[218:219], s[44:45], v[104:105]
	;; [unrolled: 1-line block ×7, first 2 shown]
	v_fma_f64 v[138:139], v[200:201], s[42:43], v[33:34]
	v_fma_f64 v[47:48], v[13:14], s[48:49], v[208:209]
	v_add_f64_e32 v[58:59], v[206:207], v[58:59]
	v_add_f64_e32 v[140:141], v[250:251], v[192:193]
	v_mul_f64_e32 v[228:229], s[8:9], v[102:103]
	v_fma_f64 v[146:147], v[200:201], s[22:23], v[45:46]
	v_fma_f64 v[122:123], v[13:14], s[20:21], v[220:221]
	v_add_f64_e32 v[142:143], v[216:217], v[184:185]
	v_add_f64_e32 v[43:44], v[43:44], v[196:197]
	v_fma_f64 v[212:213], v[200:201], s[10:11], v[238:239]
	v_fma_f64 v[214:215], v[13:14], s[12:13], v[240:241]
	v_add_f64_e32 v[150:151], v[226:227], v[186:187]
	v_add_f64_e32 v[56:57], v[56:57], v[118:119]
	v_mul_f64_e32 v[76:77], s[12:13], v[102:103]
	v_fma_f64 v[232:233], v[200:201], s[44:45], v[248:249]
	v_fma_f64 v[234:235], v[13:14], s[36:37], v[124:125]
	v_add_f64_e32 v[118:119], v[236:237], v[188:189]
	v_add_f64_e32 v[152:153], v[180:181], v[198:199]
	v_mul_f64_e32 v[136:137], s[34:35], v[102:103]
	v_add_f64_e32 v[158:159], v[246:247], v[190:191]
	v_add_f64_e32 v[37:38], v[96:97], v[37:38]
	v_mul_f64_e32 v[102:103], s[26:27], v[102:103]
	v_fma_f64 v[41:42], v[200:201], s[38:39], v[64:65]
	v_fma_f64 v[116:117], v[13:14], s[40:41], v[68:69]
	v_fma_f64 v[64:65], v[200:201], s[38:39], -v[64:65]
	v_fma_f64 v[68:69], v[13:14], s[34:35], v[68:69]
	v_add_f64_e32 v[49:50], v[92:93], v[49:50]
	v_add_f64_e32 v[1:2], v[1:2], v[15:16]
	;; [unrolled: 1-line block ×6, first 2 shown]
	v_fma_f64 v[33:34], v[200:201], s[42:43], -v[33:34]
	v_fma_f64 v[45:46], v[200:201], s[22:23], -v[45:46]
	;; [unrolled: 1-line block ×3, first 2 shown]
	v_fma_f64 v[120:121], v[13:14], s[30:31], v[208:209]
	v_fma_f64 v[130:131], v[13:14], s[26:27], v[220:221]
	v_fma_f64 v[132:133], v[13:14], s[24:25], v[240:241]
	v_fma_f64 v[13:14], v[13:14], s[46:47], v[124:125]
	v_add_f64_e32 v[82:83], v[134:135], v[82:83]
	v_add_f64_e32 v[84:85], v[144:145], v[86:87]
	;; [unrolled: 1-line block ×4, first 2 shown]
	v_fma_f64 v[108:109], v[200:201], s[10:11], -v[238:239]
	v_add_f64_e32 v[66:67], v[154:155], v[66:67]
	v_add_f64_e32 v[62:63], v[62:63], v[94:95]
	;; [unrolled: 1-line block ×4, first 2 shown]
	v_fma_f64 v[124:125], v[9:10], s[40:41], v[5:6]
	v_fma_f64 v[5:6], v[9:10], s[34:35], v[5:6]
	v_add_f64_e32 v[60:61], v[126:127], v[60:61]
	v_add_f64_e32 v[70:71], v[128:129], v[70:71]
	v_fma_f64 v[110:111], v[172:173], s[44:45], v[210:211]
	v_fma_f64 v[148:149], v[9:10], s[46:47], v[218:219]
	;; [unrolled: 1-line block ×7, first 2 shown]
	v_fma_f64 v[106:107], v[172:173], s[42:43], -v[114:115]
	v_fma_f64 v[104:105], v[9:10], s[26:27], v[104:105]
	v_fma_f64 v[114:115], v[9:10], s[36:37], v[218:219]
	;; [unrolled: 1-line block ×5, first 2 shown]
	v_add_f64_e32 v[1:2], v[1:2], v[11:12]
	v_add_f64_e32 v[126:127], v[15:16], v[31:32]
	;; [unrolled: 1-line block ×4, first 2 shown]
	v_fma_f64 v[202:203], v[172:173], s[6:7], v[228:229]
	v_add_f64_e32 v[58:59], v[146:147], v[142:143]
	v_add_f64_e32 v[43:44], v[122:123], v[43:44]
	;; [unrolled: 1-line block ×4, first 2 shown]
	v_fma_f64 v[242:243], v[172:173], s[10:11], v[76:77]
	v_add_f64_e32 v[118:119], v[232:233], v[118:119]
	v_add_f64_e32 v[122:123], v[234:235], v[152:153]
	v_fma_f64 v[21:22], v[172:173], s[38:39], v[136:137]
	v_add_f64_e32 v[138:139], v[166:167], v[158:159]
	v_add_f64_e32 v[140:141], v[168:169], v[37:38]
	;; [unrolled: 3-line block ×3, first 2 shown]
	v_fma_f64 v[102:103], v[172:173], s[22:23], -v[102:103]
	v_add_f64_e32 v[64:65], v[64:65], v[49:50]
	v_add_f64_e32 v[51:52], v[68:69], v[51:52]
	v_fma_f64 v[136:137], v[172:173], s[38:39], -v[136:137]
	v_fma_f64 v[76:77], v[172:173], s[10:11], -v[76:77]
	v_add_f64_e32 v[68:69], v[33:34], v[82:83]
	v_add_f64_e32 v[82:83], v[45:46], v[84:85]
	;; [unrolled: 1-line block ×4, first 2 shown]
	v_fma_f64 v[96:97], v[172:173], s[44:45], -v[210:211]
	v_add_f64_e32 v[66:67], v[108:109], v[66:67]
	v_add_f64_e32 v[62:63], v[132:133], v[62:63]
	v_fma_f64 v[98:99], v[172:173], s[6:7], -v[228:229]
	v_add_f64_e32 v[80:81], v[130:131], v[80:81]
	v_add_f64_e32 v[88:89], v[120:121], v[90:91]
	;; [unrolled: 1-line block ×3, first 2 shown]
	v_lshlrev_b64_e32 v[100:101], 4, v[53:54]
	v_add_nc_u32_e32 v53, s2, v53
	v_add_co_u32 v90, vcc_lo, v0, v72
	v_add_f64_e32 v[5:6], v[1:2], v[7:8]
	v_add_f64_e32 v[7:8], v[126:127], v[27:28]
	;; [unrolled: 1-line block ×4, first 2 shown]
	s_wait_alu 0xfffd
	v_add_co_ci_u32_e32 v91, vcc_lo, v55, v73, vcc_lo
	v_add_f64_e32 v[13:14], v[202:203], v[58:59]
	v_add_f64_e32 v[15:16], v[204:205], v[43:44]
	;; [unrolled: 1-line block ×6, first 2 shown]
	v_lshlrev_b64_e32 v[108:109], 4, v[53:54]
	v_add_f64_e32 v[39:40], v[21:22], v[138:139]
	v_add_f64_e32 v[41:42], v[124:125], v[140:141]
	v_add_nc_u32_e32 v53, s2, v53
	v_add_f64_e32 v[47:48], v[92:93], v[128:129]
	v_add_f64_e32 v[49:50], v[94:95], v[116:117]
	v_add_co_u32 v100, vcc_lo, v0, v100
	v_add_f64_e32 v[56:57], v[102:103], v[64:65]
	v_add_f64_e32 v[58:59], v[104:105], v[51:52]
	;; [unrolled: 1-line block ×3, first 2 shown]
	v_lshlrev_b64_e32 v[112:113], 4, v[53:54]
	v_add_nc_u32_e32 v53, s2, v53
	v_add_f64_e32 v[72:73], v[76:77], v[84:85]
	v_add_f64_e32 v[74:75], v[74:75], v[86:87]
	;; [unrolled: 1-line block ×8, first 2 shown]
	v_lshlrev_b64_e32 v[21:22], 4, v[53:54]
	v_add_nc_u32_e32 v53, s2, v53
	s_wait_alu 0xfffd
	v_add_co_ci_u32_e32 v101, vcc_lo, v55, v101, vcc_lo
	v_add_co_u32 v1, vcc_lo, v0, v108
	s_delay_alu instid0(VALU_DEP_3)
	v_lshlrev_b64_e32 v[51:52], 4, v[53:54]
	v_add_nc_u32_e32 v53, s2, v53
	s_wait_alu 0xfffd
	v_add_co_ci_u32_e32 v2, vcc_lo, v55, v109, vcc_lo
	v_add_co_u32 v27, vcc_lo, v0, v112
	s_wait_alu 0xfffd
	v_add_co_ci_u32_e32 v28, vcc_lo, v55, v113, vcc_lo
	v_add_co_u32 v21, vcc_lo, v0, v21
	v_lshlrev_b64_e32 v[53:54], 4, v[53:54]
	s_wait_alu 0xfffd
	v_add_co_ci_u32_e32 v22, vcc_lo, v55, v22, vcc_lo
	v_add_co_u32 v51, vcc_lo, v0, v51
	s_wait_alu 0xfffd
	v_add_co_ci_u32_e32 v52, vcc_lo, v55, v52, vcc_lo
	v_add_co_u32 v53, vcc_lo, v0, v53
	s_wait_alu 0xfffd
	v_add_co_ci_u32_e32 v54, vcc_lo, v55, v54, vcc_lo
	s_clause 0xc
	global_store_b128 v[19:20], v[5:8], off
	global_store_b128 v[17:18], v[9:12], off
	;; [unrolled: 1-line block ×13, first 2 shown]
	s_nop 0
	s_sendmsg sendmsg(MSG_DEALLOC_VGPRS)
	s_endpgm
	.section	.rodata,"a",@progbits
	.p2align	6, 0x0
	.amdhsa_kernel fft_rtc_back_len169_factors_13_13_wgs_156_tpt_13_dp_op_CI_CI_sbrc_xy_z_diag_dirReg
		.amdhsa_group_segment_fixed_size 0
		.amdhsa_private_segment_fixed_size 0
		.amdhsa_kernarg_size 104
		.amdhsa_user_sgpr_count 2
		.amdhsa_user_sgpr_dispatch_ptr 0
		.amdhsa_user_sgpr_queue_ptr 0
		.amdhsa_user_sgpr_kernarg_segment_ptr 1
		.amdhsa_user_sgpr_dispatch_id 0
		.amdhsa_user_sgpr_private_segment_size 0
		.amdhsa_wavefront_size32 1
		.amdhsa_uses_dynamic_stack 0
		.amdhsa_enable_private_segment 0
		.amdhsa_system_sgpr_workgroup_id_x 1
		.amdhsa_system_sgpr_workgroup_id_y 0
		.amdhsa_system_sgpr_workgroup_id_z 0
		.amdhsa_system_sgpr_workgroup_info 0
		.amdhsa_system_vgpr_workitem_id 0
		.amdhsa_next_free_vgpr 252
		.amdhsa_next_free_sgpr 53
		.amdhsa_reserve_vcc 1
		.amdhsa_float_round_mode_32 0
		.amdhsa_float_round_mode_16_64 0
		.amdhsa_float_denorm_mode_32 3
		.amdhsa_float_denorm_mode_16_64 3
		.amdhsa_fp16_overflow 0
		.amdhsa_workgroup_processor_mode 1
		.amdhsa_memory_ordered 1
		.amdhsa_forward_progress 0
		.amdhsa_round_robin_scheduling 0
		.amdhsa_exception_fp_ieee_invalid_op 0
		.amdhsa_exception_fp_denorm_src 0
		.amdhsa_exception_fp_ieee_div_zero 0
		.amdhsa_exception_fp_ieee_overflow 0
		.amdhsa_exception_fp_ieee_underflow 0
		.amdhsa_exception_fp_ieee_inexact 0
		.amdhsa_exception_int_div_zero 0
	.end_amdhsa_kernel
	.text
.Lfunc_end0:
	.size	fft_rtc_back_len169_factors_13_13_wgs_156_tpt_13_dp_op_CI_CI_sbrc_xy_z_diag_dirReg, .Lfunc_end0-fft_rtc_back_len169_factors_13_13_wgs_156_tpt_13_dp_op_CI_CI_sbrc_xy_z_diag_dirReg
                                        ; -- End function
	.section	.AMDGPU.csdata,"",@progbits
; Kernel info:
; codeLenInByte = 9200
; NumSgprs: 55
; NumVgprs: 252
; ScratchSize: 0
; MemoryBound: 0
; FloatMode: 240
; IeeeMode: 1
; LDSByteSize: 0 bytes/workgroup (compile time only)
; SGPRBlocks: 6
; VGPRBlocks: 31
; NumSGPRsForWavesPerEU: 55
; NumVGPRsForWavesPerEU: 252
; Occupancy: 5
; WaveLimiterHint : 1
; COMPUTE_PGM_RSRC2:SCRATCH_EN: 0
; COMPUTE_PGM_RSRC2:USER_SGPR: 2
; COMPUTE_PGM_RSRC2:TRAP_HANDLER: 0
; COMPUTE_PGM_RSRC2:TGID_X_EN: 1
; COMPUTE_PGM_RSRC2:TGID_Y_EN: 0
; COMPUTE_PGM_RSRC2:TGID_Z_EN: 0
; COMPUTE_PGM_RSRC2:TIDIG_COMP_CNT: 0
	.text
	.p2alignl 7, 3214868480
	.fill 96, 4, 3214868480
	.type	__hip_cuid_30d5ed80e245832b,@object ; @__hip_cuid_30d5ed80e245832b
	.section	.bss,"aw",@nobits
	.globl	__hip_cuid_30d5ed80e245832b
__hip_cuid_30d5ed80e245832b:
	.byte	0                               ; 0x0
	.size	__hip_cuid_30d5ed80e245832b, 1

	.ident	"AMD clang version 19.0.0git (https://github.com/RadeonOpenCompute/llvm-project roc-6.4.0 25133 c7fe45cf4b819c5991fe208aaa96edf142730f1d)"
	.section	".note.GNU-stack","",@progbits
	.addrsig
	.addrsig_sym __hip_cuid_30d5ed80e245832b
	.amdgpu_metadata
---
amdhsa.kernels:
  - .args:
      - .actual_access:  read_only
        .address_space:  global
        .offset:         0
        .size:           8
        .value_kind:     global_buffer
      - .offset:         8
        .size:           8
        .value_kind:     by_value
      - .actual_access:  read_only
        .address_space:  global
        .offset:         16
        .size:           8
        .value_kind:     global_buffer
      - .actual_access:  read_only
        .address_space:  global
        .offset:         24
        .size:           8
        .value_kind:     global_buffer
      - .actual_access:  read_only
        .address_space:  global
        .offset:         32
        .size:           8
        .value_kind:     global_buffer
      - .offset:         40
        .size:           8
        .value_kind:     by_value
      - .actual_access:  read_only
        .address_space:  global
        .offset:         48
        .size:           8
        .value_kind:     global_buffer
      - .actual_access:  read_only
        .address_space:  global
        .offset:         56
        .size:           8
        .value_kind:     global_buffer
      - .offset:         64
        .size:           4
        .value_kind:     by_value
      - .actual_access:  read_only
        .address_space:  global
        .offset:         72
        .size:           8
        .value_kind:     global_buffer
      - .actual_access:  read_only
        .address_space:  global
        .offset:         80
        .size:           8
        .value_kind:     global_buffer
      - .actual_access:  read_only
        .address_space:  global
        .offset:         88
        .size:           8
        .value_kind:     global_buffer
      - .actual_access:  write_only
        .address_space:  global
        .offset:         96
        .size:           8
        .value_kind:     global_buffer
    .group_segment_fixed_size: 0
    .kernarg_segment_align: 8
    .kernarg_segment_size: 104
    .language:       OpenCL C
    .language_version:
      - 2
      - 0
    .max_flat_workgroup_size: 156
    .name:           fft_rtc_back_len169_factors_13_13_wgs_156_tpt_13_dp_op_CI_CI_sbrc_xy_z_diag_dirReg
    .private_segment_fixed_size: 0
    .sgpr_count:     55
    .sgpr_spill_count: 0
    .symbol:         fft_rtc_back_len169_factors_13_13_wgs_156_tpt_13_dp_op_CI_CI_sbrc_xy_z_diag_dirReg.kd
    .uniform_work_group_size: 1
    .uses_dynamic_stack: false
    .vgpr_count:     252
    .vgpr_spill_count: 0
    .wavefront_size: 32
    .workgroup_processor_mode: 1
amdhsa.target:   amdgcn-amd-amdhsa--gfx1201
amdhsa.version:
  - 1
  - 2
...

	.end_amdgpu_metadata
